;; amdgpu-corpus repo=zjin-lcf/HeCBench kind=compiled arch=gfx906 opt=O3
	.amdgcn_target "amdgcn-amd-amdhsa--gfx906"
	.amdhsa_code_object_version 6
	.text
	.protected	_Z11jacobi_stepPfPKfS_  ; -- Begin function _Z11jacobi_stepPfPKfS_
	.globl	_Z11jacobi_stepPfPKfS_
	.p2align	8
	.type	_Z11jacobi_stepPfPKfS_,@function
_Z11jacobi_stepPfPKfS_:                 ; @_Z11jacobi_stepPfPKfS_
; %bb.0:
	s_load_dword s0, s[4:5], 0x24
	s_load_dwordx2 s[8:9], s[4:5], 0x8
	v_lshlrev_b32_e32 v7, 2, v0
	s_waitcnt lgkmcnt(0)
	s_lshr_b32 s1, s0, 16
	s_and_b32 s0, s0, 0xffff
	s_mul_i32 s6, s6, s0
	s_mul_i32 s7, s7, s1
	v_add_u32_e32 v8, s6, v0
	v_add_u32_e32 v9, s7, v1
	v_lshl_add_u32 v4, v9, 11, v8
	v_ashrrev_i32_e32 v5, 31, v4
	v_lshlrev_b64 v[2:3], 2, v[4:5]
	v_mov_b32_e32 v6, s9
	v_add_co_u32_e32 v5, vcc, s8, v2
	v_addc_co_u32_e32 v6, vcc, v6, v3, vcc
	global_load_dword v11, v[5:6], off
	s_movk_i32 s0, 0x48
	v_cmp_eq_u32_e32 vcc, 0, v0
	v_mad_u32_u24 v10, v1, s0, v7
	v_cmp_lt_i32_e64 s[0:1], 0, v8
	s_and_b64 s[0:1], vcc, s[0:1]
	s_waitcnt vmcnt(0)
	ds_write_b32 v10, v11 offset:76
	s_and_saveexec_b64 s[2:3], s[0:1]
	s_cbranch_execz .LBB0_2
; %bb.1:
	v_add_u32_e32 v11, -1, v4
	v_ashrrev_i32_e32 v12, 31, v11
	v_lshlrev_b64 v[11:12], 2, v[11:12]
	v_mov_b32_e32 v13, s9
	v_add_co_u32_e64 v11, s[0:1], s8, v11
	v_addc_co_u32_e64 v12, s[0:1], v13, v12, s[0:1]
	global_load_dword v11, v[11:12], off
	v_mul_u32_u24_e32 v12, 0x48, v1
	s_waitcnt vmcnt(0)
	ds_write_b32 v12, v11 offset:72
.LBB0_2:
	s_or_b64 exec, exec, s[2:3]
	s_movk_i32 s2, 0x7ff
	v_cmp_eq_u32_e64 s[0:1], 15, v0
	v_cmp_gt_i32_e64 s[2:3], s2, v8
	s_and_b64 s[2:3], s[0:1], s[2:3]
	s_and_saveexec_b64 s[0:1], s[2:3]
	s_cbranch_execz .LBB0_4
; %bb.3:
	global_load_dword v0, v[5:6], off offset:4
	s_waitcnt vmcnt(0)
	ds_write_b32 v10, v0 offset:80
.LBB0_4:
	s_or_b64 exec, exec, s[0:1]
	v_cmp_eq_u32_e64 s[0:1], 0, v1
	v_cmp_lt_i32_e64 s[2:3], 0, v9
	s_and_b64 s[2:3], s[0:1], s[2:3]
	s_and_saveexec_b64 s[6:7], s[2:3]
	s_cbranch_execz .LBB0_6
; %bb.5:
	v_add_u32_e32 v5, 0xfffff800, v4
	v_ashrrev_i32_e32 v6, 31, v5
	v_lshlrev_b64 v[5:6], 2, v[5:6]
	v_mov_b32_e32 v0, s9
	v_add_co_u32_e64 v5, s[2:3], s8, v5
	v_addc_co_u32_e64 v6, s[2:3], v0, v6, s[2:3]
	global_load_dword v0, v[5:6], off
	s_waitcnt vmcnt(0)
	ds_write_b32 v10, v0 offset:4
.LBB0_6:
	s_or_b64 exec, exec, s[6:7]
	s_movk_i32 s6, 0x7ff
	v_cmp_eq_u32_e64 s[2:3], 15, v1
	v_cmp_gt_i32_e64 s[6:7], s6, v9
	s_and_b64 s[2:3], s[2:3], s[6:7]
	s_and_saveexec_b64 s[6:7], s[2:3]
	s_cbranch_execz .LBB0_8
; %bb.7:
	v_add_u32_e32 v4, 0x800, v4
	v_ashrrev_i32_e32 v5, 31, v4
	v_lshlrev_b64 v[4:5], 2, v[4:5]
	v_mov_b32_e32 v0, s9
	v_add_co_u32_e64 v4, s[2:3], s8, v4
	v_addc_co_u32_e64 v5, s[2:3], v0, v5, s[2:3]
	global_load_dword v0, v[4:5], off
	s_waitcnt vmcnt(0)
	ds_write_b32 v10, v0 offset:148
.LBB0_8:
	s_or_b64 exec, exec, s[6:7]
	v_add_u32_e32 v0, -1, v9
	v_add_u32_e32 v4, -1, v8
	v_max_u32_e32 v0, v4, v0
	s_movk_i32 s2, 0x7fe
	v_cmp_gt_u32_e64 s[2:3], s2, v0
	v_mov_b32_e32 v4, 0
	s_waitcnt lgkmcnt(0)
	s_barrier
	s_and_saveexec_b64 s[6:7], s[2:3]
	s_cbranch_execz .LBB0_10
; %bb.9:
	ds_read2_b32 v[4:5], v10 offset0:1 offset1:20
	ds_read2_b32 v[8:9], v10 offset0:18 offset1:19
	ds_read_b32 v0, v10 offset:148
	s_load_dwordx2 s[2:3], s[4:5], 0x0
	s_mov_b32 s8, 0x3e800000
	s_waitcnt lgkmcnt(0)
	v_add_f32_e32 v5, v5, v8
	v_add_f32_e32 v0, v5, v0
	;; [unrolled: 1-line block ×3, first 2 shown]
	v_mov_b32_e32 v5, s3
	v_add_co_u32_e64 v2, s[2:3], s2, v2
	v_mul_f32_e32 v4, 0x3e800000, v0
	v_addc_co_u32_e64 v3, s[2:3], v5, v3, s[2:3]
	v_fma_f32 v0, v0, s8, -v9
	global_store_dword v[2:3], v4, off
	v_mul_f32_e32 v4, v0, v0
.LBB0_10:
	s_or_b64 exec, exec, s[6:7]
	v_mbcnt_lo_u32_b32 v0, -1, 0
	v_mbcnt_hi_u32_b32 v5, -1, v0
	v_and_b32_e32 v6, 63, v5
	v_cmp_gt_u32_e64 s[2:3], 56, v6
	v_cndmask_b32_e64 v0, 0, 8, s[2:3]
	v_add_lshl_u32 v0, v0, v5, 2
	ds_bpermute_b32 v3, v0, v4
	v_cmp_gt_u32_e64 s[2:3], 60, v6
	v_cndmask_b32_e64 v2, 0, 4, s[2:3]
	v_add_lshl_u32 v2, v2, v5, 2
	v_cmp_gt_u32_e64 s[2:3], 62, v6
	s_waitcnt lgkmcnt(0)
	v_add_f32_e32 v4, v4, v3
	ds_bpermute_b32 v8, v2, v4
	v_cndmask_b32_e64 v3, 0, 2, s[2:3]
	v_add_lshl_u32 v3, v3, v5, 2
	v_cmp_ne_u32_e64 s[2:3], 63, v6
	v_addc_co_u32_e64 v6, s[2:3], 0, v5, s[2:3]
	s_waitcnt lgkmcnt(0)
	v_add_f32_e32 v4, v4, v8
	ds_bpermute_b32 v8, v3, v4
	s_waitcnt lgkmcnt(0)
	v_add_f32_e32 v5, v4, v8
	v_lshlrev_b32_e32 v4, 2, v6
	ds_bpermute_b32 v6, v4, v5
	s_and_saveexec_b64 s[2:3], vcc
	s_cbranch_execz .LBB0_12
; %bb.11:
	s_waitcnt lgkmcnt(0)
	v_add_f32_e32 v5, v5, v6
	v_lshlrev_b32_e32 v1, 2, v1
	ds_write_b32 v1, v5 offset:1296
.LBB0_12:
	s_or_b64 exec, exec, s[2:3]
	s_waitcnt vmcnt(0) lgkmcnt(0)
	s_barrier
	s_and_saveexec_b64 s[2:3], s[0:1]
	s_cbranch_execz .LBB0_19
; %bb.13:
	ds_read_b32 v1, v7 offset:1296
	s_waitcnt lgkmcnt(0)
	ds_bpermute_b32 v0, v0, v1
	s_waitcnt lgkmcnt(0)
	v_add_f32_e32 v0, v1, v0
	ds_bpermute_b32 v1, v2, v0
	s_waitcnt lgkmcnt(0)
	v_add_f32_e32 v0, v0, v1
	;; [unrolled: 3-line block ×3, first 2 shown]
	ds_bpermute_b32 v1, v4, v0
	s_and_b64 exec, exec, vcc
	s_cbranch_execz .LBB0_19
; %bb.14:
	s_load_dwordx2 s[0:1], s[4:5], 0x10
	s_mov_b64 s[2:3], exec
	s_waitcnt lgkmcnt(0)
	v_add_f32_e32 v0, v0, v1
	v_bfrev_b32_e32 v2, 1
.LBB0_15:                               ; =>This Inner Loop Header: Depth=1
	s_ff1_i32_b64 s4, s[2:3]
	v_readlane_b32 s6, v0, s4
	s_lshl_b64 s[4:5], 1, s4
	s_andn2_b64 s[2:3], s[2:3], s[4:5]
	s_cmp_lg_u64 s[2:3], 0
	v_add_f32_e32 v2, s6, v2
	s_cbranch_scc1 .LBB0_15
; %bb.16:
	v_mbcnt_lo_u32_b32 v0, exec_lo, 0
	v_mbcnt_hi_u32_b32 v0, exec_hi, v0
	v_cmp_eq_u32_e32 vcc, 0, v0
	s_and_saveexec_b64 s[2:3], vcc
	s_xor_b64 s[2:3], exec, s[2:3]
	s_cbranch_execz .LBB0_19
; %bb.17:
	s_load_dword s4, s[0:1], 0x0
	s_mov_b64 s[2:3], 0
	v_mov_b32_e32 v3, 0
	s_waitcnt lgkmcnt(0)
	v_mov_b32_e32 v1, s4
.LBB0_18:                               ; =>This Inner Loop Header: Depth=1
	v_add_f32_e32 v0, v1, v2
	global_atomic_cmpswap v0, v3, v[0:1], s[0:1] glc
	s_waitcnt vmcnt(0)
	v_cmp_eq_u32_e32 vcc, v0, v1
	s_or_b64 s[2:3], vcc, s[2:3]
	v_mov_b32_e32 v1, v0
	s_andn2_b64 exec, exec, s[2:3]
	s_cbranch_execnz .LBB0_18
.LBB0_19:
	s_endpgm
	.section	.rodata,"a",@progbits
	.p2align	6, 0x0
	.amdhsa_kernel _Z11jacobi_stepPfPKfS_
		.amdhsa_group_segment_fixed_size 1360
		.amdhsa_private_segment_fixed_size 0
		.amdhsa_kernarg_size 280
		.amdhsa_user_sgpr_count 6
		.amdhsa_user_sgpr_private_segment_buffer 1
		.amdhsa_user_sgpr_dispatch_ptr 0
		.amdhsa_user_sgpr_queue_ptr 0
		.amdhsa_user_sgpr_kernarg_segment_ptr 1
		.amdhsa_user_sgpr_dispatch_id 0
		.amdhsa_user_sgpr_flat_scratch_init 0
		.amdhsa_user_sgpr_private_segment_size 0
		.amdhsa_uses_dynamic_stack 0
		.amdhsa_system_sgpr_private_segment_wavefront_offset 0
		.amdhsa_system_sgpr_workgroup_id_x 1
		.amdhsa_system_sgpr_workgroup_id_y 1
		.amdhsa_system_sgpr_workgroup_id_z 0
		.amdhsa_system_sgpr_workgroup_info 0
		.amdhsa_system_vgpr_workitem_id 1
		.amdhsa_next_free_vgpr 14
		.amdhsa_next_free_sgpr 10
		.amdhsa_reserve_vcc 1
		.amdhsa_reserve_flat_scratch 0
		.amdhsa_float_round_mode_32 0
		.amdhsa_float_round_mode_16_64 0
		.amdhsa_float_denorm_mode_32 3
		.amdhsa_float_denorm_mode_16_64 3
		.amdhsa_dx10_clamp 1
		.amdhsa_ieee_mode 1
		.amdhsa_fp16_overflow 0
		.amdhsa_exception_fp_ieee_invalid_op 0
		.amdhsa_exception_fp_denorm_src 0
		.amdhsa_exception_fp_ieee_div_zero 0
		.amdhsa_exception_fp_ieee_overflow 0
		.amdhsa_exception_fp_ieee_underflow 0
		.amdhsa_exception_fp_ieee_inexact 0
		.amdhsa_exception_int_div_zero 0
	.end_amdhsa_kernel
	.text
.Lfunc_end0:
	.size	_Z11jacobi_stepPfPKfS_, .Lfunc_end0-_Z11jacobi_stepPfPKfS_
                                        ; -- End function
	.set _Z11jacobi_stepPfPKfS_.num_vgpr, 14
	.set _Z11jacobi_stepPfPKfS_.num_agpr, 0
	.set _Z11jacobi_stepPfPKfS_.numbered_sgpr, 10
	.set _Z11jacobi_stepPfPKfS_.num_named_barrier, 0
	.set _Z11jacobi_stepPfPKfS_.private_seg_size, 0
	.set _Z11jacobi_stepPfPKfS_.uses_vcc, 1
	.set _Z11jacobi_stepPfPKfS_.uses_flat_scratch, 0
	.set _Z11jacobi_stepPfPKfS_.has_dyn_sized_stack, 0
	.set _Z11jacobi_stepPfPKfS_.has_recursion, 0
	.set _Z11jacobi_stepPfPKfS_.has_indirect_call, 0
	.section	.AMDGPU.csdata,"",@progbits
; Kernel info:
; codeLenInByte = 1048
; TotalNumSgprs: 14
; NumVgprs: 14
; ScratchSize: 0
; MemoryBound: 0
; FloatMode: 240
; IeeeMode: 1
; LDSByteSize: 1360 bytes/workgroup (compile time only)
; SGPRBlocks: 1
; VGPRBlocks: 3
; NumSGPRsForWavesPerEU: 14
; NumVGPRsForWavesPerEU: 14
; Occupancy: 10
; WaveLimiterHint : 0
; COMPUTE_PGM_RSRC2:SCRATCH_EN: 0
; COMPUTE_PGM_RSRC2:USER_SGPR: 6
; COMPUTE_PGM_RSRC2:TRAP_HANDLER: 0
; COMPUTE_PGM_RSRC2:TGID_X_EN: 1
; COMPUTE_PGM_RSRC2:TGID_Y_EN: 1
; COMPUTE_PGM_RSRC2:TGID_Z_EN: 0
; COMPUTE_PGM_RSRC2:TIDIG_COMP_CNT: 1
	.section	.AMDGPU.gpr_maximums,"",@progbits
	.set amdgpu.max_num_vgpr, 0
	.set amdgpu.max_num_agpr, 0
	.set amdgpu.max_num_sgpr, 0
	.section	.AMDGPU.csdata,"",@progbits
	.type	__hip_cuid_a033fca0ea8e14e6,@object ; @__hip_cuid_a033fca0ea8e14e6
	.section	.bss,"aw",@nobits
	.globl	__hip_cuid_a033fca0ea8e14e6
__hip_cuid_a033fca0ea8e14e6:
	.byte	0                               ; 0x0
	.size	__hip_cuid_a033fca0ea8e14e6, 1

	.ident	"AMD clang version 22.0.0git (https://github.com/RadeonOpenCompute/llvm-project roc-7.2.4 26084 f58b06dce1f9c15707c5f808fd002e18c2accf7e)"
	.section	".note.GNU-stack","",@progbits
	.addrsig
	.addrsig_sym __hip_cuid_a033fca0ea8e14e6
	.amdgpu_metadata
---
amdhsa.kernels:
  - .args:
      - .actual_access:  write_only
        .address_space:  global
        .offset:         0
        .size:           8
        .value_kind:     global_buffer
      - .actual_access:  read_only
        .address_space:  global
        .offset:         8
        .size:           8
        .value_kind:     global_buffer
      - .address_space:  global
        .offset:         16
        .size:           8
        .value_kind:     global_buffer
      - .offset:         24
        .size:           4
        .value_kind:     hidden_block_count_x
      - .offset:         28
        .size:           4
        .value_kind:     hidden_block_count_y
      - .offset:         32
        .size:           4
        .value_kind:     hidden_block_count_z
      - .offset:         36
        .size:           2
        .value_kind:     hidden_group_size_x
      - .offset:         38
        .size:           2
        .value_kind:     hidden_group_size_y
      - .offset:         40
        .size:           2
        .value_kind:     hidden_group_size_z
      - .offset:         42
        .size:           2
        .value_kind:     hidden_remainder_x
      - .offset:         44
        .size:           2
        .value_kind:     hidden_remainder_y
      - .offset:         46
        .size:           2
        .value_kind:     hidden_remainder_z
      - .offset:         64
        .size:           8
        .value_kind:     hidden_global_offset_x
      - .offset:         72
        .size:           8
        .value_kind:     hidden_global_offset_y
      - .offset:         80
        .size:           8
        .value_kind:     hidden_global_offset_z
      - .offset:         88
        .size:           2
        .value_kind:     hidden_grid_dims
    .group_segment_fixed_size: 1360
    .kernarg_segment_align: 8
    .kernarg_segment_size: 280
    .language:       OpenCL C
    .language_version:
      - 2
      - 0
    .max_flat_workgroup_size: 1024
    .name:           _Z11jacobi_stepPfPKfS_
    .private_segment_fixed_size: 0
    .sgpr_count:     14
    .sgpr_spill_count: 0
    .symbol:         _Z11jacobi_stepPfPKfS_.kd
    .uniform_work_group_size: 1
    .uses_dynamic_stack: false
    .vgpr_count:     14
    .vgpr_spill_count: 0
    .wavefront_size: 64
amdhsa.target:   amdgcn-amd-amdhsa--gfx906
amdhsa.version:
  - 1
  - 2
...

	.end_amdgpu_metadata
